;; amdgpu-corpus repo=ROCm/rocFFT kind=compiled arch=gfx906 opt=O3
	.text
	.amdgcn_target "amdgcn-amd-amdhsa--gfx906"
	.amdhsa_code_object_version 6
	.protected	fft_rtc_fwd_len240_factors_5_3_4_4_wgs_240_tpt_20_dim3_sp_ip_CI_sbcc_twdbase8_3step_dirReg ; -- Begin function fft_rtc_fwd_len240_factors_5_3_4_4_wgs_240_tpt_20_dim3_sp_ip_CI_sbcc_twdbase8_3step_dirReg
	.globl	fft_rtc_fwd_len240_factors_5_3_4_4_wgs_240_tpt_20_dim3_sp_ip_CI_sbcc_twdbase8_3step_dirReg
	.p2align	8
	.type	fft_rtc_fwd_len240_factors_5_3_4_4_wgs_240_tpt_20_dim3_sp_ip_CI_sbcc_twdbase8_3step_dirReg,@function
fft_rtc_fwd_len240_factors_5_3_4_4_wgs_240_tpt_20_dim3_sp_ip_CI_sbcc_twdbase8_3step_dirReg: ; @fft_rtc_fwd_len240_factors_5_3_4_4_wgs_240_tpt_20_dim3_sp_ip_CI_sbcc_twdbase8_3step_dirReg
; %bb.0:
	s_load_dwordx4 s[0:3], s[4:5], 0x10
	s_mov_b32 s7, 0
	s_waitcnt lgkmcnt(0)
	s_load_dwordx2 s[14:15], s[0:1], 0x8
	s_waitcnt lgkmcnt(0)
	s_add_u32 s8, s14, -1
	s_addc_u32 s9, s15, -1
	s_add_u32 s10, 0, 0x55540000
	s_addc_u32 s11, 0, 0x55
	s_mul_hi_u32 s13, s10, -12
	s_add_i32 s11, s11, 0x15555500
	s_sub_i32 s13, s13, s10
	s_mul_i32 s18, s11, -12
	s_mul_i32 s12, s10, -12
	s_add_i32 s13, s13, s18
	s_mul_hi_u32 s16, s11, s12
	s_mul_i32 s17, s11, s12
	s_mul_i32 s19, s10, s13
	s_mul_hi_u32 s12, s10, s12
	s_mul_hi_u32 s18, s10, s13
	s_add_u32 s12, s12, s19
	s_addc_u32 s18, 0, s18
	s_add_u32 s12, s12, s17
	s_mul_hi_u32 s19, s11, s13
	s_addc_u32 s12, s18, s16
	s_addc_u32 s16, s19, 0
	s_mul_i32 s13, s11, s13
	s_add_u32 s12, s12, s13
	v_mov_b32_e32 v1, s12
	s_addc_u32 s13, 0, s16
	v_add_co_u32_e32 v1, vcc, s10, v1
	s_cmp_lg_u64 vcc, 0
	s_addc_u32 s10, s11, s13
	v_readfirstlane_b32 s13, v1
	s_mul_i32 s12, s8, s10
	s_mul_hi_u32 s16, s8, s13
	s_mul_hi_u32 s11, s8, s10
	s_add_u32 s12, s16, s12
	s_addc_u32 s11, 0, s11
	s_mul_hi_u32 s17, s9, s13
	s_mul_i32 s13, s9, s13
	s_add_u32 s12, s12, s13
	s_mul_hi_u32 s16, s9, s10
	s_addc_u32 s11, s11, s17
	s_addc_u32 s12, s16, 0
	s_mul_i32 s10, s9, s10
	s_add_u32 s10, s11, s10
	s_addc_u32 s11, 0, s12
	s_add_u32 s12, s10, 1
	s_addc_u32 s13, s11, 0
	s_add_u32 s16, s10, 2
	s_mul_i32 s18, s11, 12
	s_mul_hi_u32 s19, s10, 12
	s_addc_u32 s17, s11, 0
	s_add_i32 s19, s19, s18
	s_mul_i32 s18, s10, 12
	v_mov_b32_e32 v1, s18
	v_sub_co_u32_e32 v1, vcc, s8, v1
	s_cmp_lg_u64 vcc, 0
	s_subb_u32 s8, s9, s19
	v_subrev_co_u32_e32 v2, vcc, 12, v1
	s_cmp_lg_u64 vcc, 0
	s_subb_u32 s9, s8, 0
	v_readfirstlane_b32 s18, v2
	s_cmp_gt_u32 s18, 11
	s_cselect_b32 s18, -1, 0
	s_cmp_eq_u32 s9, 0
	s_cselect_b32 s9, s18, -1
	s_cmp_lg_u32 s9, 0
	s_cselect_b32 s9, s16, s12
	s_cselect_b32 s12, s17, s13
	v_readfirstlane_b32 s13, v1
	s_cmp_gt_u32 s13, 11
	s_cselect_b32 s13, -1, 0
	s_cmp_eq_u32 s8, 0
	s_cselect_b32 s8, s13, -1
	s_cmp_lg_u32 s8, 0
	s_cselect_b32 s9, s9, s10
	s_cselect_b32 s8, s12, s11
	s_add_u32 s16, s9, 1
	s_addc_u32 s17, s8, 0
	v_mov_b32_e32 v1, s16
	v_mov_b32_e32 v2, s17
	v_cmp_lt_u64_e32 vcc, s[6:7], v[1:2]
	s_mov_b64 s[18:19], 0
	s_cbranch_vccnz .LBB0_2
; %bb.1:
	v_cvt_f32_u32_e32 v1, s16
	s_sub_i32 s8, 0, s16
	s_mov_b32 s19, s7
	v_rcp_iflag_f32_e32 v1, v1
	v_mul_f32_e32 v1, 0x4f7ffffe, v1
	v_cvt_u32_f32_e32 v1, v1
	v_readfirstlane_b32 s9, v1
	s_mul_i32 s8, s8, s9
	s_mul_hi_u32 s8, s9, s8
	s_add_i32 s9, s9, s8
	s_mul_hi_u32 s8, s6, s9
	s_mul_i32 s10, s8, s16
	s_sub_i32 s10, s6, s10
	s_add_i32 s9, s8, 1
	s_sub_i32 s11, s10, s16
	s_cmp_ge_u32 s10, s16
	s_cselect_b32 s8, s9, s8
	s_cselect_b32 s10, s11, s10
	s_add_i32 s9, s8, 1
	s_cmp_ge_u32 s10, s16
	s_cselect_b32 s18, s9, s8
.LBB0_2:
	s_load_dwordx2 s[8:9], s[0:1], 0x10
	s_load_dwordx2 s[10:11], s[2:3], 0x8
	s_mov_b64 s[0:1], s[18:19]
	s_waitcnt lgkmcnt(0)
	v_mov_b32_e32 v1, s8
	v_mov_b32_e32 v2, s9
	v_cmp_lt_u64_e32 vcc, s[18:19], v[1:2]
	s_cbranch_vccnz .LBB0_4
; %bb.3:
	v_cvt_f32_u32_e32 v1, s8
	s_sub_i32 s0, 0, s8
	v_rcp_iflag_f32_e32 v1, v1
	v_mul_f32_e32 v1, 0x4f7ffffe, v1
	v_cvt_u32_f32_e32 v1, v1
	v_readfirstlane_b32 s1, v1
	s_mul_i32 s0, s0, s1
	s_mul_hi_u32 s0, s1, s0
	s_add_i32 s1, s1, s0
	s_mul_hi_u32 s0, s18, s1
	s_mul_i32 s0, s0, s8
	s_sub_i32 s0, s18, s0
	s_sub_i32 s1, s0, s8
	s_cmp_ge_u32 s0, s8
	s_cselect_b32 s0, s1, s0
	s_sub_i32 s1, s0, s8
	s_cmp_ge_u32 s0, s8
	s_cselect_b32 s0, s1, s0
.LBB0_4:
	s_mul_i32 s1, s8, s17
	s_mul_hi_u32 s19, s8, s16
	s_add_i32 s1, s19, s1
	s_mul_i32 s9, s9, s16
	s_mul_i32 s24, s8, s16
	s_load_dwordx2 s[12:13], s[4:5], 0x50
	s_add_i32 s25, s1, s9
	s_load_dwordx2 s[8:9], s[2:3], 0x0
	s_load_dwordx2 s[20:21], s[2:3], 0x10
	v_mov_b32_e32 v1, s24
	v_mov_b32_e32 v2, s25
	v_cmp_lt_u64_e32 vcc, s[6:7], v[1:2]
	s_mov_b64 s[22:23], 0
	s_cbranch_vccnz .LBB0_6
; %bb.5:
	v_cvt_f32_u32_e32 v1, s24
	s_sub_i32 s1, 0, s24
	v_rcp_iflag_f32_e32 v1, v1
	v_mul_f32_e32 v1, 0x4f7ffffe, v1
	v_cvt_u32_f32_e32 v1, v1
	v_readfirstlane_b32 s7, v1
	s_mul_i32 s1, s1, s7
	s_mul_hi_u32 s1, s7, s1
	s_add_i32 s7, s7, s1
	s_mul_hi_u32 s1, s6, s7
	s_mul_i32 s19, s1, s24
	s_sub_i32 s19, s6, s19
	s_add_i32 s7, s1, 1
	s_sub_i32 s22, s19, s24
	s_cmp_ge_u32 s19, s24
	s_cselect_b32 s1, s7, s1
	s_cselect_b32 s19, s22, s19
	s_add_i32 s7, s1, 1
	s_cmp_ge_u32 s19, s24
	s_cselect_b32 s22, s7, s1
.LBB0_6:
	s_mul_i32 s1, s18, s17
	s_mul_hi_u32 s7, s18, s16
	s_add_i32 s7, s7, s1
	s_mul_i32 s1, s18, s16
	s_sub_u32 s1, s6, s1
	s_subb_u32 s6, 0, s7
	s_mul_i32 s6, s6, 12
	s_mul_hi_u32 s7, s1, 12
	s_load_dwordx2 s[2:3], s[2:3], 0x18
	s_add_i32 s6, s7, s6
	s_mul_i32 s1, s1, 12
	s_mul_i32 s7, s10, s6
	s_mul_hi_u32 s16, s10, s1
	s_add_i32 s7, s16, s7
	s_mul_i32 s16, s11, s1
	s_waitcnt lgkmcnt(0)
	s_mul_i32 s17, s21, s0
	s_mul_hi_u32 s18, s20, s0
	s_add_i32 s7, s7, s16
	s_mul_i32 s16, s10, s1
	s_add_i32 s18, s18, s17
	s_mul_i32 s0, s20, s0
	v_mul_u32_u24_e32 v1, 0x1556, v0
	s_add_u32 s0, s0, s16
	s_mul_i32 s3, s3, s22
	s_mul_hi_u32 s16, s2, s22
	v_lshrrev_b32_e32 v43, 16, v1
	s_addc_u32 s7, s18, s7
	s_add_i32 s16, s16, s3
	s_mul_i32 s2, s2, s22
	v_mul_lo_u16_e32 v1, 12, v43
	s_add_u32 s2, s2, s0
	v_sub_u16_e32 v40, v0, v1
	s_addc_u32 s3, s16, s7
	v_mov_b32_e32 v1, s6
	v_add_co_u32_e32 v13, vcc, s1, v40
	v_addc_co_u32_e32 v14, vcc, 0, v1, vcc
	s_add_u32 s0, s1, 12
	v_mov_b32_e32 v1, s14
	s_addc_u32 s1, s6, 0
	v_mov_b32_e32 v2, s15
	v_cmp_gt_u64_e32 vcc, s[0:1], v[1:2]
	v_cmp_le_u64_e64 s[0:1], s[0:1], v[1:2]
	s_cbranch_vccz .LBB0_14
; %bb.7:
	v_cmp_le_u64_e32 vcc, s[14:15], v[13:14]
                                        ; implicit-def: $vgpr41
	s_and_saveexec_b64 s[6:7], vcc
	s_xor_b64 s[6:7], exec, s[6:7]
; %bb.8:
	v_add_u32_e32 v41, 20, v43
; %bb.9:
	s_or_saveexec_b64 s[6:7], s[6:7]
                                        ; implicit-def: $vgpr3
                                        ; implicit-def: $vgpr11
                                        ; implicit-def: $vgpr21
                                        ; implicit-def: $vgpr25
                                        ; implicit-def: $vgpr27
                                        ; implicit-def: $vgpr31
                                        ; implicit-def: $vgpr23
                                        ; implicit-def: $vgpr19
                                        ; implicit-def: $vgpr17
                                        ; implicit-def: $vgpr15
                                        ; implicit-def: $vgpr9
                                        ; implicit-def: $vgpr29
                                        ; implicit-def: $vgpr7
                                        ; implicit-def: $vgpr5
                                        ; implicit-def: $vgpr1
	s_xor_b64 exec, exec, s[6:7]
	s_cbranch_execz .LBB0_13
; %bb.10:
	v_mad_u64_u32 v[1:2], s[16:17], s10, v40, 0
	v_mad_u64_u32 v[3:4], s[16:17], s8, v43, 0
	v_add_u32_e32 v8, 48, v43
	v_add_u32_e32 v41, 20, v43
	v_mad_u64_u32 v[5:6], s[16:17], s11, v40, v[2:3]
	v_mov_b32_e32 v2, v4
	v_mad_u64_u32 v[6:7], s[16:17], s9, v43, v[2:3]
	s_lshl_b64 s[16:17], s[2:3], 3
	s_add_u32 s18, s12, s16
	s_addc_u32 s16, s13, s17
	v_mov_b32_e32 v2, v5
	v_mov_b32_e32 v4, v6
	;; [unrolled: 1-line block ×3, first 2 shown]
	v_mad_u64_u32 v[5:6], s[16:17], s8, v8, 0
	v_lshlrev_b64 v[1:2], 3, v[1:2]
                                        ; implicit-def: $vgpr31
	v_add_co_u32_e32 v32, vcc, s18, v1
	v_addc_co_u32_e32 v33, vcc, v7, v2, vcc
	v_lshlrev_b64 v[1:2], 3, v[3:4]
	v_mov_b32_e32 v3, v6
	v_mad_u64_u32 v[3:4], s[16:17], s9, v8, v[3:4]
	v_or_b32_e32 v4, 0x60, v43
	v_mad_u64_u32 v[7:8], s[16:17], s8, v4, 0
	v_add_co_u32_e32 v9, vcc, v32, v1
	v_mov_b32_e32 v6, v3
	v_mov_b32_e32 v3, v8
	v_addc_co_u32_e32 v10, vcc, v33, v2, vcc
	v_lshlrev_b64 v[1:2], 3, v[5:6]
	v_mad_u64_u32 v[3:4], s[16:17], s9, v4, v[3:4]
	v_add_u32_e32 v6, 0x90, v43
	v_mad_u64_u32 v[4:5], s[16:17], s8, v6, 0
	v_mov_b32_e32 v8, v3
	v_add_co_u32_e32 v11, vcc, v32, v1
	v_mov_b32_e32 v3, v5
	v_mad_u64_u32 v[5:6], s[16:17], s9, v6, v[3:4]
	v_addc_co_u32_e32 v12, vcc, v33, v2, vcc
	v_lshlrev_b64 v[1:2], 3, v[7:8]
	v_or_b32_e32 v3, 0xc0, v43
	v_mad_u64_u32 v[17:18], s[16:17], s8, v3, 0
	v_add_co_u32_e32 v15, vcc, v32, v1
	v_addc_co_u32_e32 v16, vcc, v33, v2, vcc
	v_lshlrev_b64 v[1:2], 3, v[4:5]
	v_add_co_u32_e32 v19, vcc, v32, v1
	v_mov_b32_e32 v1, v18
	v_mad_u64_u32 v[21:22], s[16:17], s9, v3, v[1:2]
	v_mad_u64_u32 v[22:23], s[16:17], s8, v41, 0
	v_addc_co_u32_e32 v20, vcc, v33, v2, vcc
	global_load_dwordx2 v[1:2], v[9:10], off
	global_load_dwordx2 v[5:6], v[11:12], off
	;; [unrolled: 1-line block ×4, first 2 shown]
	v_mov_b32_e32 v11, v23
	v_mad_u64_u32 v[11:12], s[16:17], s9, v41, v[11:12]
	v_add_u32_e32 v12, 0x44, v43
	v_mad_u64_u32 v[15:16], s[16:17], s8, v12, 0
	v_mov_b32_e32 v23, v11
	v_mov_b32_e32 v18, v21
	;; [unrolled: 1-line block ×3, first 2 shown]
	v_mad_u64_u32 v[11:12], s[16:17], s9, v12, v[11:12]
	v_add_u32_e32 v12, 0x74, v43
	v_mad_u64_u32 v[19:20], s[16:17], s8, v12, 0
	v_lshlrev_b64 v[9:10], 3, v[17:18]
	v_mov_b32_e32 v16, v11
	v_add_co_u32_e32 v17, vcc, v32, v9
	v_addc_co_u32_e32 v18, vcc, v33, v10, vcc
	v_lshlrev_b64 v[9:10], 3, v[22:23]
	v_mov_b32_e32 v11, v20
	v_mad_u64_u32 v[11:12], s[16:17], s9, v12, v[11:12]
	v_add_co_u32_e32 v21, vcc, v32, v9
	v_addc_co_u32_e32 v22, vcc, v33, v10, vcc
	v_lshlrev_b64 v[9:10], 3, v[15:16]
	v_mov_b32_e32 v20, v11
	v_add_co_u32_e32 v23, vcc, v32, v9
	v_add_u32_e32 v11, 0xa4, v43
	v_addc_co_u32_e32 v24, vcc, v33, v10, vcc
	v_lshlrev_b64 v[9:10], 3, v[19:20]
	v_mad_u64_u32 v[19:20], s[16:17], s8, v11, 0
	v_add_co_u32_e32 v25, vcc, v32, v9
	v_mov_b32_e32 v9, v20
	v_mad_u64_u32 v[27:28], s[16:17], s9, v11, v[9:10]
	v_add_u32_e32 v28, 0xd4, v43
	v_mad_u64_u32 v[34:35], s[16:17], s8, v28, 0
	v_mov_b32_e32 v20, v27
	v_addc_co_u32_e32 v26, vcc, v33, v10, vcc
	global_load_dwordx2 v[29:30], v[17:18], off
	global_load_dwordx2 v[9:10], v[21:22], off
	;; [unrolled: 1-line block ×4, first 2 shown]
	v_lshlrev_b64 v[17:18], 3, v[19:20]
	v_mov_b32_e32 v19, v35
	v_mad_u64_u32 v[19:20], s[16:17], s9, v28, v[19:20]
	v_add_co_u32_e32 v21, vcc, v32, v17
	v_mov_b32_e32 v35, v19
	v_addc_co_u32_e32 v22, vcc, v33, v18, vcc
	v_lshlrev_b64 v[17:18], 3, v[34:35]
	s_movk_i32 s16, 0x60
	v_add_co_u32_e32 v23, vcc, v32, v17
	v_addc_co_u32_e32 v24, vcc, v33, v18, vcc
	global_load_dwordx2 v[17:18], v[21:22], off
	global_load_dwordx2 v[19:20], v[23:24], off
	v_cmp_gt_u32_e32 vcc, s16, v0
                                        ; implicit-def: $vgpr21
                                        ; implicit-def: $vgpr25
                                        ; implicit-def: $vgpr27
                                        ; implicit-def: $vgpr23
	s_and_saveexec_b64 s[16:17], vcc
	s_cbranch_execz .LBB0_12
; %bb.11:
	v_add_u32_e32 v25, 40, v43
	v_add_u32_e32 v27, 0x58, v43
	v_mad_u64_u32 v[21:22], s[18:19], s8, v25, 0
	v_mad_u64_u32 v[23:24], s[18:19], s8, v27, 0
	;; [unrolled: 1-line block ×3, first 2 shown]
	v_mov_b32_e32 v22, v25
	v_mad_u64_u32 v[24:25], s[18:19], s9, v27, v[24:25]
	v_add_u32_e32 v27, 0x88, v43
	v_mad_u64_u32 v[25:26], s[18:19], s8, v27, 0
	v_lshlrev_b64 v[21:22], 3, v[21:22]
	v_add_co_u32_e32 v34, vcc, v32, v21
	v_addc_co_u32_e32 v35, vcc, v33, v22, vcc
	v_lshlrev_b64 v[21:22], 3, v[23:24]
	v_mov_b32_e32 v23, v26
	v_mad_u64_u32 v[23:24], s[18:19], s9, v27, v[23:24]
	v_add_u32_e32 v24, 0xb8, v43
	v_mad_u64_u32 v[27:28], s[18:19], s8, v24, 0
	v_mov_b32_e32 v26, v23
	v_add_co_u32_e32 v36, vcc, v32, v21
	v_mov_b32_e32 v23, v28
	v_mad_u64_u32 v[23:24], s[18:19], s9, v24, v[23:24]
	v_addc_co_u32_e32 v37, vcc, v33, v22, vcc
	v_lshlrev_b64 v[21:22], 3, v[25:26]
	v_mov_b32_e32 v28, v23
	v_add_u32_e32 v23, 0xe8, v43
	v_mad_u64_u32 v[44:45], s[18:19], s8, v23, 0
	v_add_co_u32_e32 v38, vcc, v32, v21
	v_addc_co_u32_e32 v39, vcc, v33, v22, vcc
	v_lshlrev_b64 v[21:22], 3, v[27:28]
	v_add_co_u32_e32 v46, vcc, v32, v21
	v_mov_b32_e32 v21, v45
	v_mad_u64_u32 v[48:49], s[18:19], s9, v23, v[21:22]
	v_addc_co_u32_e32 v47, vcc, v33, v22, vcc
	v_mov_b32_e32 v45, v48
	global_load_dwordx2 v[23:24], v[34:35], off
	global_load_dwordx2 v[21:22], v[36:37], off
	;; [unrolled: 1-line block ×4, first 2 shown]
	v_lshlrev_b64 v[34:35], 3, v[44:45]
	v_add_co_u32_e32 v31, vcc, v32, v34
	v_addc_co_u32_e32 v32, vcc, v33, v35, vcc
	global_load_dwordx2 v[31:32], v[31:32], off
.LBB0_12:
	s_or_b64 exec, exec, s[16:17]
.LBB0_13:
	s_or_b64 exec, exec, s[6:7]
	s_load_dwordx2 s[6:7], s[4:5], 0x0
	s_cbranch_execz .LBB0_15
	s_branch .LBB0_18
.LBB0_14:
                                        ; implicit-def: $vgpr3
                                        ; implicit-def: $vgpr11
                                        ; implicit-def: $vgpr21
                                        ; implicit-def: $vgpr25
                                        ; implicit-def: $vgpr27
                                        ; implicit-def: $vgpr31
                                        ; implicit-def: $vgpr23
                                        ; implicit-def: $vgpr19
                                        ; implicit-def: $vgpr17
                                        ; implicit-def: $vgpr15
                                        ; implicit-def: $vgpr41
                                        ; implicit-def: $vgpr9
                                        ; implicit-def: $vgpr29
                                        ; implicit-def: $vgpr7
                                        ; implicit-def: $vgpr5
                                        ; implicit-def: $vgpr1
	s_load_dwordx2 s[6:7], s[4:5], 0x0
.LBB0_15:
	s_waitcnt vmcnt(9)
	v_mad_u64_u32 v[1:2], s[16:17], s10, v40, 0
	s_waitcnt vmcnt(6)
	v_mad_u64_u32 v[3:4], s[16:17], s8, v43, 0
	v_add_u32_e32 v8, 48, v43
	v_add_u32_e32 v41, 20, v43
	v_mad_u64_u32 v[5:6], s[16:17], s11, v40, v[2:3]
	v_mov_b32_e32 v2, v4
	v_mad_u64_u32 v[6:7], s[16:17], s9, v43, v[2:3]
	s_lshl_b64 s[16:17], s[2:3], 3
	s_add_u32 s18, s12, s16
	s_addc_u32 s16, s13, s17
	v_mov_b32_e32 v2, v5
	v_mov_b32_e32 v4, v6
	;; [unrolled: 1-line block ×3, first 2 shown]
	v_mad_u64_u32 v[5:6], s[16:17], s8, v8, 0
	v_lshlrev_b64 v[1:2], 3, v[1:2]
                                        ; implicit-def: $vgpr31
	s_waitcnt vmcnt(0)
	v_add_co_u32_e32 v32, vcc, s18, v1
	v_addc_co_u32_e32 v33, vcc, v7, v2, vcc
	v_lshlrev_b64 v[1:2], 3, v[3:4]
	v_mov_b32_e32 v3, v6
	v_mad_u64_u32 v[3:4], s[16:17], s9, v8, v[3:4]
	v_or_b32_e32 v4, 0x60, v43
	v_mad_u64_u32 v[7:8], s[16:17], s8, v4, 0
	v_add_co_u32_e32 v9, vcc, v32, v1
	v_mov_b32_e32 v6, v3
	v_mov_b32_e32 v3, v8
	v_addc_co_u32_e32 v10, vcc, v33, v2, vcc
	v_lshlrev_b64 v[1:2], 3, v[5:6]
	v_mad_u64_u32 v[3:4], s[16:17], s9, v4, v[3:4]
	v_add_u32_e32 v6, 0x90, v43
	v_mad_u64_u32 v[4:5], s[16:17], s8, v6, 0
	v_mov_b32_e32 v8, v3
	v_add_co_u32_e32 v11, vcc, v32, v1
	v_mov_b32_e32 v3, v5
	v_mad_u64_u32 v[5:6], s[16:17], s9, v6, v[3:4]
	v_addc_co_u32_e32 v12, vcc, v33, v2, vcc
	v_lshlrev_b64 v[1:2], 3, v[7:8]
	v_or_b32_e32 v3, 0xc0, v43
	v_mad_u64_u32 v[17:18], s[16:17], s8, v3, 0
	v_add_co_u32_e32 v15, vcc, v32, v1
	v_addc_co_u32_e32 v16, vcc, v33, v2, vcc
	v_lshlrev_b64 v[1:2], 3, v[4:5]
	v_add_co_u32_e32 v19, vcc, v32, v1
	v_mov_b32_e32 v1, v18
	v_mad_u64_u32 v[21:22], s[16:17], s9, v3, v[1:2]
	v_mad_u64_u32 v[22:23], s[16:17], s8, v41, 0
	v_addc_co_u32_e32 v20, vcc, v33, v2, vcc
	global_load_dwordx2 v[1:2], v[9:10], off
	global_load_dwordx2 v[5:6], v[11:12], off
	;; [unrolled: 1-line block ×4, first 2 shown]
	v_mov_b32_e32 v11, v23
	v_mad_u64_u32 v[11:12], s[16:17], s9, v41, v[11:12]
	v_add_u32_e32 v12, 0x44, v43
	v_mad_u64_u32 v[15:16], s[16:17], s8, v12, 0
	v_mov_b32_e32 v23, v11
	v_mov_b32_e32 v18, v21
	;; [unrolled: 1-line block ×3, first 2 shown]
	v_mad_u64_u32 v[11:12], s[16:17], s9, v12, v[11:12]
	v_add_u32_e32 v12, 0x74, v43
	v_mad_u64_u32 v[19:20], s[16:17], s8, v12, 0
	v_lshlrev_b64 v[9:10], 3, v[17:18]
	v_mov_b32_e32 v16, v11
	v_add_co_u32_e32 v17, vcc, v32, v9
	v_addc_co_u32_e32 v18, vcc, v33, v10, vcc
	v_lshlrev_b64 v[9:10], 3, v[22:23]
	v_mov_b32_e32 v11, v20
	v_mad_u64_u32 v[11:12], s[16:17], s9, v12, v[11:12]
	v_add_co_u32_e32 v21, vcc, v32, v9
	v_addc_co_u32_e32 v22, vcc, v33, v10, vcc
	v_lshlrev_b64 v[9:10], 3, v[15:16]
	v_mov_b32_e32 v20, v11
	v_add_co_u32_e32 v23, vcc, v32, v9
	v_add_u32_e32 v11, 0xa4, v43
	v_addc_co_u32_e32 v24, vcc, v33, v10, vcc
	v_lshlrev_b64 v[9:10], 3, v[19:20]
	v_mad_u64_u32 v[19:20], s[16:17], s8, v11, 0
	v_add_co_u32_e32 v25, vcc, v32, v9
	v_mov_b32_e32 v9, v20
	v_mad_u64_u32 v[27:28], s[16:17], s9, v11, v[9:10]
	v_add_u32_e32 v28, 0xd4, v43
	v_mad_u64_u32 v[34:35], s[16:17], s8, v28, 0
	v_mov_b32_e32 v20, v27
	v_addc_co_u32_e32 v26, vcc, v33, v10, vcc
	global_load_dwordx2 v[29:30], v[17:18], off
	global_load_dwordx2 v[9:10], v[21:22], off
	;; [unrolled: 1-line block ×4, first 2 shown]
	v_lshlrev_b64 v[17:18], 3, v[19:20]
	v_mov_b32_e32 v19, v35
	v_mad_u64_u32 v[19:20], s[16:17], s9, v28, v[19:20]
	v_add_co_u32_e32 v21, vcc, v32, v17
	v_mov_b32_e32 v35, v19
	v_addc_co_u32_e32 v22, vcc, v33, v18, vcc
	v_lshlrev_b64 v[17:18], 3, v[34:35]
	s_movk_i32 s16, 0x60
	v_add_co_u32_e32 v23, vcc, v32, v17
	v_addc_co_u32_e32 v24, vcc, v33, v18, vcc
	global_load_dwordx2 v[17:18], v[21:22], off
	global_load_dwordx2 v[19:20], v[23:24], off
	v_cmp_gt_u32_e32 vcc, s16, v0
                                        ; implicit-def: $vgpr21
                                        ; implicit-def: $vgpr25
                                        ; implicit-def: $vgpr27
                                        ; implicit-def: $vgpr23
	s_and_saveexec_b64 s[16:17], vcc
	s_cbranch_execz .LBB0_17
; %bb.16:
	v_add_u32_e32 v25, 40, v43
	v_add_u32_e32 v27, 0x58, v43
	v_mad_u64_u32 v[21:22], s[18:19], s8, v25, 0
	v_mad_u64_u32 v[23:24], s[18:19], s8, v27, 0
	;; [unrolled: 1-line block ×3, first 2 shown]
	v_mov_b32_e32 v22, v25
	v_mad_u64_u32 v[24:25], s[18:19], s9, v27, v[24:25]
	v_add_u32_e32 v27, 0x88, v43
	v_mad_u64_u32 v[25:26], s[18:19], s8, v27, 0
	v_lshlrev_b64 v[21:22], 3, v[21:22]
	v_add_co_u32_e32 v34, vcc, v32, v21
	v_addc_co_u32_e32 v35, vcc, v33, v22, vcc
	v_lshlrev_b64 v[21:22], 3, v[23:24]
	v_mov_b32_e32 v23, v26
	v_mad_u64_u32 v[23:24], s[18:19], s9, v27, v[23:24]
	v_add_u32_e32 v24, 0xb8, v43
	v_mad_u64_u32 v[27:28], s[18:19], s8, v24, 0
	v_mov_b32_e32 v26, v23
	v_add_co_u32_e32 v36, vcc, v32, v21
	v_mov_b32_e32 v23, v28
	v_mad_u64_u32 v[23:24], s[18:19], s9, v24, v[23:24]
	v_addc_co_u32_e32 v37, vcc, v33, v22, vcc
	v_lshlrev_b64 v[21:22], 3, v[25:26]
	v_mov_b32_e32 v28, v23
	v_add_u32_e32 v23, 0xe8, v43
	v_mad_u64_u32 v[44:45], s[18:19], s8, v23, 0
	v_add_co_u32_e32 v38, vcc, v32, v21
	v_addc_co_u32_e32 v39, vcc, v33, v22, vcc
	v_lshlrev_b64 v[21:22], 3, v[27:28]
	v_add_co_u32_e32 v46, vcc, v32, v21
	v_mov_b32_e32 v21, v45
	v_mad_u64_u32 v[48:49], s[18:19], s9, v23, v[21:22]
	v_addc_co_u32_e32 v47, vcc, v33, v22, vcc
	v_mov_b32_e32 v45, v48
	global_load_dwordx2 v[23:24], v[34:35], off
	global_load_dwordx2 v[21:22], v[36:37], off
	;; [unrolled: 1-line block ×4, first 2 shown]
	v_lshlrev_b64 v[34:35], 3, v[44:45]
	v_add_co_u32_e32 v31, vcc, v32, v34
	v_addc_co_u32_e32 v32, vcc, v33, v35, vcc
	global_load_dwordx2 v[31:32], v[31:32], off
.LBB0_17:
	s_or_b64 exec, exec, s[16:17]
.LBB0_18:
	s_waitcnt vmcnt(6)
	v_add_f32_e32 v34, v3, v7
	v_fma_f32 v35, -0.5, v34, v1
	s_waitcnt vmcnt(5)
	v_sub_f32_e32 v34, v6, v30
	v_mov_b32_e32 v37, v35
	v_fmac_f32_e32 v37, 0x3f737871, v34
	v_sub_f32_e32 v36, v8, v4
	v_sub_f32_e32 v38, v5, v7
	;; [unrolled: 1-line block ×3, first 2 shown]
	v_fmac_f32_e32 v35, 0xbf737871, v34
	v_fmac_f32_e32 v37, 0x3f167918, v36
	v_add_f32_e32 v38, v38, v39
	v_fmac_f32_e32 v35, 0xbf167918, v36
	v_fmac_f32_e32 v37, 0x3e9e377a, v38
	;; [unrolled: 1-line block ×3, first 2 shown]
	v_add_f32_e32 v38, v5, v29
	v_add_f32_e32 v33, v1, v5
	v_fmac_f32_e32 v1, -0.5, v38
	v_mov_b32_e32 v44, v1
	v_fmac_f32_e32 v44, 0xbf737871, v36
	v_sub_f32_e32 v38, v7, v5
	v_sub_f32_e32 v39, v3, v29
	v_fmac_f32_e32 v1, 0x3f737871, v36
	v_add_f32_e32 v36, v4, v8
	v_add_f32_e32 v33, v33, v7
	v_fmac_f32_e32 v44, 0x3f167918, v34
	v_add_f32_e32 v38, v38, v39
	v_fmac_f32_e32 v1, 0xbf167918, v34
	v_fma_f32 v36, -0.5, v36, v2
	v_add_f32_e32 v33, v33, v3
	v_fmac_f32_e32 v44, 0x3e9e377a, v38
	v_fmac_f32_e32 v1, 0x3e9e377a, v38
	v_sub_f32_e32 v5, v5, v29
	v_mov_b32_e32 v38, v36
	v_add_f32_e32 v33, v33, v29
	v_fmac_f32_e32 v38, 0xbf737871, v5
	v_sub_f32_e32 v3, v7, v3
	v_sub_f32_e32 v7, v6, v8
	v_sub_f32_e32 v29, v30, v4
	v_fmac_f32_e32 v36, 0x3f737871, v5
	v_fmac_f32_e32 v38, 0xbf167918, v3
	v_add_f32_e32 v7, v7, v29
	v_fmac_f32_e32 v36, 0x3f167918, v3
	v_fmac_f32_e32 v38, 0x3e9e377a, v7
	;; [unrolled: 1-line block ×3, first 2 shown]
	v_add_f32_e32 v7, v6, v30
	v_add_f32_e32 v34, v2, v6
	v_fmac_f32_e32 v2, -0.5, v7
	v_mov_b32_e32 v45, v2
	v_fmac_f32_e32 v45, 0x3f737871, v3
	v_fmac_f32_e32 v2, 0xbf737871, v3
	s_waitcnt vmcnt(3)
	v_add_f32_e32 v3, v9, v15
	s_waitcnt vmcnt(2)
	v_add_f32_e32 v3, v3, v11
	;; [unrolled: 2-line block ×3, first 2 shown]
	v_add_f32_e32 v34, v34, v8
	v_fmac_f32_e32 v45, 0xbf167918, v5
	v_fmac_f32_e32 v2, 0x3f167918, v5
	s_waitcnt vmcnt(0)
	v_add_f32_e32 v5, v3, v19
	v_add_f32_e32 v3, v11, v17
	;; [unrolled: 1-line block ×3, first 2 shown]
	v_sub_f32_e32 v6, v8, v6
	v_sub_f32_e32 v4, v4, v30
	v_fma_f32 v7, -0.5, v3, v9
	v_add_f32_e32 v4, v6, v4
	v_sub_f32_e32 v3, v16, v20
	v_mov_b32_e32 v29, v7
	v_fmac_f32_e32 v45, 0x3e9e377a, v4
	v_fmac_f32_e32 v2, 0x3e9e377a, v4
	;; [unrolled: 1-line block ×3, first 2 shown]
	v_sub_f32_e32 v4, v12, v18
	v_sub_f32_e32 v6, v15, v11
	;; [unrolled: 1-line block ×3, first 2 shown]
	v_fmac_f32_e32 v7, 0xbf737871, v3
	v_fmac_f32_e32 v29, 0x3f167918, v4
	v_add_f32_e32 v6, v8, v6
	v_fmac_f32_e32 v7, 0xbf167918, v4
	v_fmac_f32_e32 v29, 0x3e9e377a, v6
	;; [unrolled: 1-line block ×3, first 2 shown]
	v_add_f32_e32 v6, v15, v19
	v_fmac_f32_e32 v9, -0.5, v6
	v_mov_b32_e32 v46, v9
	v_fmac_f32_e32 v46, 0xbf737871, v4
	v_fmac_f32_e32 v9, 0x3f737871, v4
	;; [unrolled: 1-line block ×4, first 2 shown]
	v_add_f32_e32 v3, v10, v16
	v_sub_f32_e32 v6, v11, v15
	v_sub_f32_e32 v8, v17, v19
	v_add_f32_e32 v3, v3, v12
	v_add_f32_e32 v6, v8, v6
	;; [unrolled: 1-line block ×3, first 2 shown]
	v_fmac_f32_e32 v46, 0x3e9e377a, v6
	v_fmac_f32_e32 v9, 0x3e9e377a, v6
	v_add_f32_e32 v6, v3, v20
	v_add_f32_e32 v3, v12, v18
	v_fma_f32 v8, -0.5, v3, v10
	v_add_f32_e32 v34, v34, v30
	v_sub_f32_e32 v3, v15, v19
	v_mov_b32_e32 v30, v8
	v_fmac_f32_e32 v30, 0xbf737871, v3
	v_sub_f32_e32 v4, v11, v17
	v_sub_f32_e32 v11, v16, v12
	;; [unrolled: 1-line block ×3, first 2 shown]
	v_fmac_f32_e32 v8, 0x3f737871, v3
	v_fmac_f32_e32 v30, 0xbf167918, v4
	v_add_f32_e32 v11, v15, v11
	v_fmac_f32_e32 v8, 0x3f167918, v4
	v_fmac_f32_e32 v30, 0x3e9e377a, v11
	;; [unrolled: 1-line block ×3, first 2 shown]
	v_add_f32_e32 v11, v16, v20
	v_fmac_f32_e32 v10, -0.5, v11
	v_sub_f32_e32 v11, v12, v16
	v_sub_f32_e32 v12, v18, v20
	s_movk_i32 s16, 0x1e0
	v_mov_b32_e32 v47, v10
	v_add_f32_e32 v11, v12, v11
	v_mul_lo_u32 v12, v41, s16
	v_fmac_f32_e32 v47, 0x3f737871, v4
	v_fmac_f32_e32 v10, 0xbf737871, v4
	;; [unrolled: 1-line block ×4, first 2 shown]
	v_mad_u32_u24 v4, v43, s16, 0
	v_lshlrev_b32_e32 v3, 3, v40
	v_fmac_f32_e32 v47, 0x3e9e377a, v11
	v_fmac_f32_e32 v10, 0x3e9e377a, v11
	v_add_u32_e32 v11, v4, v3
	ds_write2_b64 v11, v[33:34], v[37:38] offset1:12
	ds_write2_b64 v11, v[44:45], v[1:2] offset0:24 offset1:36
	ds_write_b64 v11, v[35:36] offset:384
	v_add_u32_e32 v1, 0, v12
	s_movk_i32 s16, 0x60
	v_add_u32_e32 v2, v1, v3
	v_cmp_gt_u32_e32 vcc, s16, v0
	ds_write2_b64 v2, v[5:6], v[29:30] offset1:12
	ds_write2_b64 v2, v[46:47], v[9:10] offset0:24 offset1:36
	ds_write_b64 v2, v[7:8] offset:384
	s_and_saveexec_b64 s[16:17], vcc
	s_cbranch_execz .LBB0_20
; %bb.19:
	v_add_f32_e32 v2, v24, v22
	v_add_f32_e32 v2, v26, v2
	;; [unrolled: 1-line block ×8, first 2 shown]
	v_fma_f32 v8, -0.5, v8, v24
	v_add_f32_e32 v5, v31, v2
	v_sub_f32_e32 v2, v26, v22
	v_sub_f32_e32 v7, v28, v32
	;; [unrolled: 1-line block ×3, first 2 shown]
	v_mov_b32_e32 v10, v8
	v_add_f32_e32 v2, v7, v2
	v_sub_f32_e32 v7, v21, v31
	v_fmac_f32_e32 v10, 0xbf737871, v9
	v_fmac_f32_e32 v8, 0x3f737871, v9
	;; [unrolled: 1-line block ×6, first 2 shown]
	v_sub_f32_e32 v2, v22, v26
	v_sub_f32_e32 v11, v32, v28
	v_add_f32_e32 v2, v11, v2
	v_add_f32_e32 v11, v28, v26
	v_fmac_f32_e32 v24, -0.5, v11
	v_mov_b32_e32 v12, v24
	v_fmac_f32_e32 v12, 0x3f737871, v7
	v_fmac_f32_e32 v24, 0xbf737871, v7
	;; [unrolled: 1-line block ×6, first 2 shown]
	v_sub_f32_e32 v2, v25, v21
	v_sub_f32_e32 v7, v27, v31
	v_add_f32_e32 v2, v7, v2
	v_add_f32_e32 v7, v31, v21
	v_fma_f32 v7, -0.5, v7, v23
	v_sub_f32_e32 v15, v26, v28
	v_mov_b32_e32 v9, v7
	v_fmac_f32_e32 v9, 0x3f737871, v15
	v_sub_f32_e32 v16, v22, v32
	v_fmac_f32_e32 v7, 0xbf737871, v15
	v_fmac_f32_e32 v9, 0xbf167918, v16
	;; [unrolled: 1-line block ×5, first 2 shown]
	v_sub_f32_e32 v2, v21, v25
	v_sub_f32_e32 v11, v31, v27
	v_add_f32_e32 v2, v11, v2
	v_add_f32_e32 v11, v27, v25
	v_fmac_f32_e32 v23, -0.5, v11
	v_mov_b32_e32 v11, v23
	v_fmac_f32_e32 v11, 0xbf737871, v16
	v_fmac_f32_e32 v23, 0x3f737871, v16
	;; [unrolled: 1-line block ×6, first 2 shown]
	v_lshl_add_u32 v2, v40, 3, v4
	v_add_u32_e32 v4, 0x4800, v2
	ds_write2_b64 v4, v[5:6], v[23:24] offset0:96 offset1:108
	ds_write2_b64 v4, v[7:8], v[9:10] offset0:120 offset1:132
	ds_write_b64 v2, v[11:12] offset:19584
.LBB0_20:
	s_or_b64 exec, exec, s[16:17]
	v_add_u32_e32 v42, 40, v43
	v_mul_lo_u16_e32 v16, 0x67, v42
	v_lshrrev_b16_e32 v46, 9, v16
	v_mul_lo_u16_e32 v2, 52, v43
	s_movk_i32 s16, 0xcd
	v_mul_lo_u16_e32 v16, 5, v46
	v_lshrrev_b16_e32 v2, 8, v2
	v_add_u16_e32 v15, 60, v43
	v_mul_lo_u16_sdwa v8, v41, s16 dst_sel:DWORD dst_unused:UNUSED_PAD src0_sel:BYTE_0 src1_sel:DWORD
	v_sub_u16_e32 v16, v42, v16
	v_mul_lo_u16_e32 v4, 5, v2
	v_lshrrev_b16_e32 v17, 10, v8
	v_mul_lo_u16_e32 v18, 0x67, v15
	v_and_b32_e32 v52, 0xff, v16
	v_sub_u16_e32 v4, v43, v4
	v_mul_lo_u16_e32 v8, 5, v17
	v_lshlrev_b32_e32 v16, 4, v52
	v_lshrrev_b16_e32 v53, 9, v18
	s_waitcnt lgkmcnt(0)
	s_barrier
	v_and_b32_e32 v12, 0xff, v4
	v_sub_u16_e32 v8, v41, v8
	global_load_dwordx4 v[19:22], v16, s[6:7]
	v_mul_lo_u16_e32 v16, 5, v53
	v_lshlrev_b32_e32 v4, 4, v12
	v_and_b32_e32 v39, 0xff, v8
	v_sub_u16_e32 v15, v15, v16
	global_load_dwordx4 v[4:7], v4, s[6:7]
	v_lshlrev_b32_e32 v8, 4, v39
	global_load_dwordx4 v[8:11], v8, s[6:7]
	v_and_b32_e32 v54, 0xff, v15
	v_lshlrev_b32_e32 v15, 4, v54
	global_load_dwordx4 v[23:26], v15, s[6:7]
	v_mul_u32_u24_e32 v15, 0x60, v43
	s_movk_i32 s16, 0xfe80
	v_add3_u32 v47, 0, v15, v3
	v_mul_lo_u32 v15, v41, s16
	v_add_u32_e32 v55, 0x1e00, v47
	v_add_u32_e32 v56, 0x3c00, v47
	;; [unrolled: 1-line block ×4, first 2 shown]
	ds_read2_b64 v[27:30], v55 offset1:240
	ds_read2_b64 v[31:34], v56 offset1:240
	;; [unrolled: 1-line block ×4, first 2 shown]
	v_add3_u32 v18, v1, v15, v3
	ds_read_b64 v[15:16], v47
	ds_read_b64 v[44:45], v18
	v_mad_u32_u24 v2, v2, 15, v12
	v_mul_u32_u24_e32 v2, 0x60, v2
	v_add3_u32 v2, 0, v2, v3
	s_movk_i32 s16, 0x89
	v_cmp_gt_u64_e32 vcc, s[14:15], v[13:14]
	s_or_b64 s[0:1], s[0:1], vcc
	s_waitcnt vmcnt(2) lgkmcnt(5)
	v_mul_f32_e32 v1, v5, v28
	v_mul_f32_e32 v5, v5, v27
	s_waitcnt lgkmcnt(4)
	v_mul_f32_e32 v59, v7, v32
	v_mul_f32_e32 v7, v7, v31
	v_fma_f32 v1, v4, v27, -v1
	v_fmac_f32_e32 v5, v4, v28
	v_fma_f32 v4, v6, v31, -v59
	v_fmac_f32_e32 v7, v6, v32
	s_waitcnt vmcnt(1)
	v_mul_f32_e32 v6, v9, v30
	v_mul_f32_e32 v27, v9, v29
	;; [unrolled: 1-line block ×4, first 2 shown]
	v_fma_f32 v6, v8, v29, -v6
	v_fmac_f32_e32 v27, v8, v30
	s_waitcnt lgkmcnt(3)
	v_mul_f32_e32 v8, v36, v20
	v_mul_f32_e32 v29, v35, v20
	v_fma_f32 v20, v10, v33, -v9
	s_waitcnt vmcnt(0)
	v_mul_f32_e32 v9, v38, v24
	s_waitcnt lgkmcnt(2)
	v_mul_f32_e32 v11, v49, v22
	v_fmac_f32_e32 v28, v10, v34
	v_mul_f32_e32 v10, v51, v26
	v_fma_f32 v34, v37, v23, -v9
	v_add_f32_e32 v9, v1, v4
	v_mul_f32_e32 v32, v50, v26
	v_fma_f32 v26, v35, v19, -v8
	v_fma_f32 v33, v48, v21, -v11
	;; [unrolled: 1-line block ×3, first 2 shown]
	s_waitcnt lgkmcnt(1)
	v_add_f32_e32 v8, v15, v1
	v_sub_f32_e32 v11, v5, v7
	v_add_f32_e32 v10, v16, v5
	v_add_f32_e32 v5, v5, v7
	v_fma_f32 v15, -0.5, v9, v15
	v_add_f32_e32 v9, v10, v7
	v_mov_b32_e32 v10, v15
	v_fmac_f32_e32 v16, -0.5, v5
	v_add_f32_e32 v8, v8, v4
	v_fmac_f32_e32 v15, 0xbf5db3d7, v11
	v_fmac_f32_e32 v10, 0x3f5db3d7, v11
	v_sub_f32_e32 v1, v1, v4
	v_mov_b32_e32 v11, v16
	v_add_f32_e32 v4, v6, v20
	v_fmac_f32_e32 v11, 0xbf5db3d7, v1
	v_fmac_f32_e32 v16, 0x3f5db3d7, v1
	s_waitcnt lgkmcnt(0)
	v_add_f32_e32 v1, v44, v6
	v_fma_f32 v44, -0.5, v4, v44
	v_fmac_f32_e32 v29, v36, v19
	v_sub_f32_e32 v4, v27, v28
	v_mov_b32_e32 v19, v44
	v_mul_f32_e32 v30, v48, v22
	v_fmac_f32_e32 v19, 0x3f5db3d7, v4
	v_fmac_f32_e32 v44, 0xbf5db3d7, v4
	v_add_f32_e32 v4, v27, v28
	v_fmac_f32_e32 v30, v49, v21
	v_add_f32_e32 v21, v1, v20
	v_add_f32_e32 v1, v45, v27
	v_fmac_f32_e32 v45, -0.5, v4
	v_add_f32_e32 v22, v1, v28
	v_add_u32_e32 v1, 0xf00, v47
	v_sub_f32_e32 v4, v6, v20
	v_mov_b32_e32 v20, v45
	v_fmac_f32_e32 v20, 0xbf5db3d7, v4
	v_fmac_f32_e32 v45, 0x3f5db3d7, v4
	ds_read2_b64 v[4:7], v1 offset1:240
	s_waitcnt lgkmcnt(0)
	s_barrier
	ds_write2_b64 v2, v[8:9], v[10:11] offset1:60
	v_add_f32_e32 v8, v26, v33
	v_mul_f32_e32 v31, v37, v24
	v_fma_f32 v8, -0.5, v8, v4
	v_add_f32_e32 v4, v4, v26
	v_fmac_f32_e32 v31, v38, v23
	v_add_f32_e32 v23, v4, v33
	v_add_f32_e32 v4, v5, v29
	ds_write_b64 v2, v[15:16] offset:960
	v_mad_u32_u24 v2, v17, 15, v39
	v_sub_f32_e32 v9, v29, v30
	v_mov_b32_e32 v10, v8
	v_add_f32_e32 v24, v4, v30
	v_add_f32_e32 v4, v29, v30
	v_mul_u32_u24_e32 v2, 0x60, v2
	v_fmac_f32_e32 v10, 0x3f5db3d7, v9
	v_fmac_f32_e32 v8, 0xbf5db3d7, v9
	v_fma_f32 v9, -0.5, v4, v5
	v_add3_u32 v2, 0, v2, v3
	v_sub_f32_e32 v4, v26, v33
	v_mov_b32_e32 v11, v9
	v_add_f32_e32 v5, v6, v34
	ds_write2_b64 v2, v[21:22], v[19:20] offset1:60
	ds_write_b64 v2, v[44:45] offset:960
	v_mad_u32_u24 v2, v46, 15, v52
	v_fmac_f32_e32 v32, v51, v25
	v_fmac_f32_e32 v11, 0xbf5db3d7, v4
	;; [unrolled: 1-line block ×3, first 2 shown]
	v_add_f32_e32 v4, v34, v35
	v_add_f32_e32 v25, v5, v35
	;; [unrolled: 1-line block ×3, first 2 shown]
	v_mul_u32_u24_e32 v2, 0x60, v2
	v_fma_f32 v6, -0.5, v4, v6
	v_add_f32_e32 v26, v5, v32
	v_add_f32_e32 v5, v31, v32
	v_add3_u32 v2, 0, v2, v3
	v_sub_f32_e32 v12, v31, v32
	v_mov_b32_e32 v4, v6
	v_fmac_f32_e32 v7, -0.5, v5
	ds_write2_b64 v2, v[23:24], v[10:11] offset1:60
	ds_write_b64 v2, v[8:9] offset:960
	v_mad_u32_u24 v2, v53, 15, v54
	v_fmac_f32_e32 v4, 0x3f5db3d7, v12
	v_fmac_f32_e32 v6, 0xbf5db3d7, v12
	v_sub_f32_e32 v12, v34, v35
	v_mov_b32_e32 v5, v7
	v_mul_u32_u24_e32 v2, 0x60, v2
	v_fmac_f32_e32 v5, 0xbf5db3d7, v12
	v_add3_u32 v2, 0, v2, v3
	v_fmac_f32_e32 v7, 0x3f5db3d7, v12
	ds_write2_b64 v2, v[25:26], v[4:5] offset1:60
	ds_write_b64 v2, v[6:7] offset:960
	v_mul_lo_u16_e32 v2, 35, v43
	v_lshrrev_b16_e32 v12, 9, v2
	v_mul_lo_u16_e32 v2, 15, v12
	v_sub_u16_e32 v2, v43, v2
	v_and_b32_e32 v17, 0xff, v2
	v_mul_u32_u24_e32 v2, 3, v17
	v_lshlrev_b32_e32 v23, 3, v2
	v_mul_lo_u16_e32 v2, 0x89, v42
	v_lshrrev_b16_e32 v33, 11, v2
	s_waitcnt lgkmcnt(0)
	s_barrier
	global_load_dwordx2 v[15:16], v23, s[6:7] offset:96
	v_mul_lo_u16_e32 v4, 15, v33
	v_sub_u16_e32 v4, v42, v4
	v_and_b32_e32 v34, 0xff, v4
	v_mul_u32_u24_e32 v4, 3, v34
	v_lshlrev_b32_e32 v24, 3, v4
	global_load_dwordx4 v[4:7], v24, s[6:7] offset:80
	v_mul_lo_u16_sdwa v8, v41, s16 dst_sel:DWORD dst_unused:UNUSED_PAD src0_sel:BYTE_0 src1_sel:DWORD
	v_lshrrev_b16_e32 v35, 11, v8
	v_mul_lo_u16_e32 v8, 15, v35
	v_sub_u16_e32 v8, v41, v8
	v_and_b32_e32 v36, 0xff, v8
	v_mul_u32_u24_e32 v8, 3, v36
	v_lshlrev_b32_e32 v25, 3, v8
	global_load_dwordx4 v[8:11], v25, s[6:7] offset:80
	global_load_dwordx2 v[29:30], v25, s[6:7] offset:96
	global_load_dwordx2 v[31:32], v24, s[6:7] offset:96
	global_load_dwordx4 v[19:22], v23, s[6:7] offset:80
	ds_read2_b64 v[23:26], v56 offset1:240
	v_mad_u32_u24 v12, v12, 60, v17
	v_mul_u32_u24_e32 v12, 0x60, v12
	v_add3_u32 v12, 0, v12, v3
	s_waitcnt vmcnt(5) lgkmcnt(0)
	v_mul_f32_e32 v27, v16, v26
	v_mul_f32_e32 v16, v16, v25
	v_fma_f32 v37, v15, v25, -v27
	v_fmac_f32_e32 v16, v15, v26
	ds_read2_b64 v[25:28], v55 offset1:240
	s_waitcnt vmcnt(4)
	v_mul_f32_e32 v15, v24, v7
	v_mul_f32_e32 v39, v23, v7
	v_fma_f32 v38, v23, v6, -v15
	v_fmac_f32_e32 v39, v24, v6
	s_waitcnt lgkmcnt(0)
	v_mul_f32_e32 v6, v28, v5
	v_fma_f32 v44, v27, v4, -v6
	v_mul_f32_e32 v27, v27, v5
	v_fmac_f32_e32 v27, v28, v4
	s_waitcnt vmcnt(3)
	v_mul_f32_e32 v15, v9, v26
	ds_read2_b64 v[4:7], v57 offset1:240
	v_mul_f32_e32 v45, v9, v25
	v_fma_f32 v28, v8, v25, -v15
	v_fmac_f32_e32 v45, v8, v26
	ds_read2_b64 v[23:26], v58 offset1:240
	s_waitcnt lgkmcnt(1)
	v_mul_f32_e32 v8, v11, v7
	v_fma_f32 v46, v10, v6, -v8
	v_mul_f32_e32 v48, v11, v6
	v_fmac_f32_e32 v48, v10, v7
	s_waitcnt vmcnt(2) lgkmcnt(0)
	v_mul_f32_e32 v6, v24, v30
	v_fma_f32 v49, v23, v29, -v6
	v_mul_f32_e32 v23, v23, v30
	s_waitcnt vmcnt(1)
	v_mul_f32_e32 v6, v26, v32
	v_fmac_f32_e32 v23, v24, v29
	v_fma_f32 v29, v25, v31, -v6
	ds_read2_b64 v[6:9], v1 offset1:240
	s_waitcnt vmcnt(0)
	v_mul_f32_e32 v10, v22, v5
	v_mul_f32_e32 v11, v22, v4
	v_fma_f32 v10, v21, v4, -v10
	v_fmac_f32_e32 v11, v21, v5
	ds_read_b64 v[4:5], v47
	s_waitcnt lgkmcnt(1)
	v_mul_f32_e32 v15, v20, v9
	v_mul_f32_e32 v20, v20, v8
	v_fma_f32 v15, v19, v8, -v15
	v_fmac_f32_e32 v20, v19, v9
	ds_read_b64 v[8:9], v18
	s_waitcnt lgkmcnt(1)
	v_sub_f32_e32 v19, v4, v10
	v_sub_f32_e32 v21, v5, v11
	;; [unrolled: 1-line block ×4, first 2 shown]
	v_fma_f32 v10, v4, 2.0, -v19
	v_fma_f32 v11, v5, 2.0, -v21
	;; [unrolled: 1-line block ×4, first 2 shown]
	v_sub_f32_e32 v4, v10, v4
	v_sub_f32_e32 v5, v11, v5
	;; [unrolled: 1-line block ×3, first 2 shown]
	v_add_f32_e32 v16, v21, v22
	v_mul_f32_e32 v30, v25, v32
	v_fma_f32 v10, v10, 2.0, -v4
	v_fma_f32 v11, v11, 2.0, -v5
	v_fma_f32 v19, v19, 2.0, -v15
	v_fma_f32 v20, v21, 2.0, -v16
	v_fmac_f32_e32 v30, v26, v31
	s_waitcnt lgkmcnt(0)
	v_sub_f32_e32 v25, v8, v46
	v_sub_f32_e32 v26, v9, v48
	;; [unrolled: 1-line block ×4, first 2 shown]
	s_barrier
	ds_write2_b64 v12, v[10:11], v[19:20] offset1:180
	v_add_u32_e32 v10, 0xa00, v12
	v_fma_f32 v21, v8, 2.0, -v25
	v_fma_f32 v22, v9, 2.0, -v26
	;; [unrolled: 1-line block ×4, first 2 shown]
	ds_write2_b64 v10, v[4:5], v[15:16] offset0:40 offset1:220
	v_mad_u32_u24 v4, v35, 60, v36
	v_sub_f32_e32 v8, v21, v8
	v_sub_f32_e32 v9, v22, v9
	;; [unrolled: 1-line block ×3, first 2 shown]
	v_add_f32_e32 v24, v26, v24
	v_mul_u32_u24_e32 v4, 0x60, v4
	v_fma_f32 v21, v21, 2.0, -v8
	v_fma_f32 v22, v22, 2.0, -v9
	;; [unrolled: 1-line block ×4, first 2 shown]
	v_add3_u32 v4, 0, v4, v3
	v_sub_f32_e32 v31, v6, v38
	v_sub_f32_e32 v32, v7, v39
	;; [unrolled: 1-line block ×4, first 2 shown]
	ds_write2_b64 v4, v[21:22], v[25:26] offset1:180
	v_add_u32_e32 v4, 0xa00, v4
	v_fma_f32 v28, v6, 2.0, -v31
	v_fma_f32 v37, v7, 2.0, -v32
	;; [unrolled: 1-line block ×4, first 2 shown]
	ds_write2_b64 v4, v[8:9], v[23:24] offset0:40 offset1:220
	v_mad_u32_u24 v4, v33, 60, v34
	v_sub_f32_e32 v6, v28, v6
	v_sub_f32_e32 v7, v37, v7
	;; [unrolled: 1-line block ×3, first 2 shown]
	v_add_f32_e32 v30, v32, v38
	v_mul_u32_u24_e32 v4, 0x60, v4
	v_fma_f32 v27, v28, 2.0, -v6
	v_fma_f32 v28, v37, 2.0, -v7
	;; [unrolled: 1-line block ×4, first 2 shown]
	v_add3_u32 v3, 0, v4, v3
	ds_write2_b64 v3, v[27:28], v[31:32] offset1:180
	v_add_u32_e32 v3, 0xa00, v3
	ds_write2_b64 v3, v[6:7], v[29:30] offset0:40 offset1:220
	s_waitcnt lgkmcnt(0)
	s_barrier
	s_and_saveexec_b64 s[14:15], s[0:1]
	s_cbranch_execz .LBB0_22
; %bb.21:
	v_lshrrev_b16_e32 v44, 13, v2
	v_mul_lo_u16_e32 v2, 60, v44
	v_sub_u16_e32 v2, v42, v2
	v_and_b32_e32 v19, 0xff, v2
	v_mul_u32_u24_e32 v2, 3, v19
	v_lshlrev_b32_e32 v2, 3, v2
	global_load_dwordx4 v[9:12], v2, s[6:7] offset:440
	global_load_dwordx2 v[14:15], v2, s[6:7] offset:456
	v_add_u32_e32 v2, 0xb4, v19
	v_add_u32_e32 v3, 0x78, v19
	v_mul_lo_u32 v2, v13, v2
	v_mul_lo_u32 v3, v13, v3
	s_load_dwordx2 s[0:1], s[4:5], 0x8
	v_mov_b32_e32 v45, 3
	v_lshlrev_b32_sdwa v4, v45, v2 dst_sel:DWORD dst_unused:UNUSED_PAD src0_sel:DWORD src1_sel:BYTE_0
	v_lshlrev_b32_sdwa v5, v45, v2 dst_sel:DWORD dst_unused:UNUSED_PAD src0_sel:DWORD src1_sel:BYTE_1
	v_lshlrev_b32_sdwa v6, v45, v3 dst_sel:DWORD dst_unused:UNUSED_PAD src0_sel:DWORD src1_sel:BYTE_0
	v_lshlrev_b32_sdwa v7, v45, v3 dst_sel:DWORD dst_unused:UNUSED_PAD src0_sel:DWORD src1_sel:BYTE_1
	v_mov_b32_e32 v46, 0x1000
	v_bfe_u32 v2, v2, 16, 8
	v_bfe_u32 v3, v3, 16, 8
	v_lshl_or_b32 v2, v2, 3, v46
	v_lshl_or_b32 v3, v3, 3, v46
	s_waitcnt lgkmcnt(0)
	global_load_dwordx2 v[22:23], v6, s[0:1]
	global_load_dwordx2 v[28:29], v7, s[0:1] offset:2048
	global_load_dwordx2 v[20:21], v4, s[0:1]
	global_load_dwordx2 v[26:27], v5, s[0:1] offset:2048
	global_load_dwordx2 v[16:17], v3, s[0:1]
	global_load_dwordx2 v[30:31], v2, s[0:1]
	v_add_u32_e32 v2, 60, v19
	v_mul_lo_u32 v2, v13, v2
	v_add_u32_e32 v5, 0x2580, v47
	v_mul_lo_u32 v50, v13, v19
	v_add_u32_e32 v49, 0x1680, v47
	v_lshlrev_b32_sdwa v4, v45, v2 dst_sel:DWORD dst_unused:UNUSED_PAD src0_sel:DWORD src1_sel:BYTE_1
	v_lshlrev_b32_sdwa v3, v45, v2 dst_sel:DWORD dst_unused:UNUSED_PAD src0_sel:DWORD src1_sel:BYTE_0
	global_load_dwordx2 v[32:33], v4, s[0:1] offset:2048
	global_load_dwordx2 v[34:35], v3, s[0:1]
	v_bfe_u32 v2, v2, 16, 8
	v_lshl_or_b32 v2, v2, 3, v46
	global_load_dwordx2 v[24:25], v2, s[0:1]
	v_add_u32_e32 v2, 0x3480, v47
	ds_read_b64 v[36:37], v1
	ds_read_b32 v48, v1
	ds_read2_b64 v[1:4], v2 offset1:240
	ds_read2_b64 v[5:8], v5 offset1:240
	ds_read_b64 v[38:39], v47 offset:21120
	ds_read_b64 v[18:19], v18
	ds_read_b64 v[51:52], v49
	v_bfe_u32 v49, v50, 16, 8
	v_lshl_or_b32 v59, v49, 3, v46
	v_lshlrev_b32_sdwa v57, v45, v50 dst_sel:DWORD dst_unused:UNUSED_PAD src0_sel:DWORD src1_sel:BYTE_0
	v_lshlrev_b32_sdwa v58, v45, v50 dst_sel:DWORD dst_unused:UNUSED_PAD src0_sel:DWORD src1_sel:BYTE_1
	s_movk_i32 s4, 0x1e0
	v_cmp_gt_u32_e32 vcc, s4, v0
	s_movk_i32 s4, 0x2d0
	s_lshl_b64 s[2:3], s[2:3], 3
	s_waitcnt vmcnt(10) lgkmcnt(4)
	v_mul_f32_e32 v60, v3, v12
	s_waitcnt lgkmcnt(3)
	v_mul_f32_e32 v49, v6, v10
	v_mul_f32_e32 v12, v4, v12
	v_fmac_f32_e32 v60, v4, v11
	v_fma_f32 v4, v5, v9, -v49
	global_load_dwordx2 v[49:50], v59, s[0:1]
	global_load_dwordx2 v[53:54], v57, s[0:1]
	global_load_dwordx2 v[55:56], v58, s[0:1] offset:2048
	v_mul_f32_e32 v10, v5, v10
	v_fmac_f32_e32 v10, v6, v9
	s_waitcnt vmcnt(12) lgkmcnt(2)
	v_mul_f32_e32 v5, v39, v15
	v_mul_f32_e32 v6, v38, v15
	v_fma_f32 v3, v3, v11, -v12
	v_fma_f32 v5, v38, v14, -v5
	v_fmac_f32_e32 v6, v39, v14
	v_sub_f32_e32 v14, v37, v60
	v_sub_f32_e32 v5, v4, v5
	;; [unrolled: 1-line block ×4, first 2 shown]
	v_add_f32_e32 v15, v14, v5
	v_sub_f32_e32 v36, v3, v6
	v_fma_f32 v37, v37, 2.0, -v14
	v_fma_f32 v6, v10, 2.0, -v6
	;; [unrolled: 1-line block ×3, first 2 shown]
	s_waitcnt vmcnt(10)
	v_mul_f32_e32 v5, v23, v29
	s_waitcnt vmcnt(8)
	v_mul_f32_e32 v9, v21, v27
	v_fma_f32 v38, v48, 2.0, -v3
	v_sub_f32_e32 v39, v37, v6
	v_mul_f32_e32 v6, v22, v29
	v_mul_f32_e32 v10, v20, v27
	v_fma_f32 v5, v22, v28, -v5
	v_fma_f32 v9, v20, v26, -v9
	v_fmac_f32_e32 v6, v23, v28
	v_fmac_f32_e32 v10, v21, v26
	s_waitcnt vmcnt(6)
	v_mul_f32_e32 v20, v9, v31
	v_sub_f32_e32 v29, v38, v4
	v_mul_f32_e32 v4, v5, v17
	v_mul_f32_e32 v11, v6, v17
	;; [unrolled: 1-line block ×3, first 2 shown]
	v_fmac_f32_e32 v20, v30, v10
	v_fmac_f32_e32 v4, v16, v6
	v_fma_f32 v27, v16, v5, -v11
	v_fma_f32 v9, v30, v9, -v12
	v_mul_f32_e32 v10, v36, v20
	v_mul_f32_e32 v11, v15, v20
	;; [unrolled: 1-line block ×4, first 2 shown]
	s_waitcnt vmcnt(4)
	v_mul_f32_e32 v31, v34, v33
	v_fmac_f32_e32 v10, v15, v9
	v_fma_f32 v9, v36, v9, -v11
	v_fma_f32 v11, v29, v27, -v4
	v_mul_f32_e32 v4, v35, v33
	v_fmac_f32_e32 v31, v35, v32
	v_fma_f32 v33, v3, 2.0, -v36
	v_subrev_u32_e32 v3, 40, v43
	v_fma_f32 v4, v34, v32, -v4
	s_waitcnt vmcnt(3)
	v_mul_f32_e32 v5, v31, v25
	v_cndmask_b32_e32 v63, v3, v41, vcc
	v_fma_f32 v32, v24, v4, -v5
	v_mul_f32_e32 v34, v4, v25
	v_lshl_add_u32 v3, v63, 1, v63
	v_mov_b32_e32 v4, 0
	v_fma_f32 v30, v14, 2.0, -v15
	v_lshlrev_b64 v[14:15], 3, v[3:4]
	v_subrev_u32_e32 v3, 60, v43
	v_cmp_gt_u32_e32 vcc, s4, v0
	v_cndmask_b32_e32 v28, v3, v43, vcc
	v_mul_i32_i24_e32 v3, 3, v28
	v_lshlrev_b64 v[3:4], 3, v[3:4]
	v_mov_b32_e32 v17, s7
	v_add_co_u32_e32 v25, vcc, s6, v3
	v_addc_co_u32_e32 v26, vcc, v17, v4, vcc
	v_add_co_u32_e32 v16, vcc, s6, v14
	v_add_u32_e32 v14, 0xb4, v63
	v_fmac_f32_e32 v34, v24, v31
	v_mul_lo_u32 v24, v13, v14
	global_load_dwordx4 v[3:6], v[25:26], off offset:440
	v_addc_co_u32_e32 v17, vcc, v17, v15, vcc
	global_load_dwordx4 v[20:23], v[16:17], off offset:440
	v_mul_f32_e32 v14, v30, v34
	v_lshlrev_b32_sdwa v31, v45, v24 dst_sel:DWORD dst_unused:UNUSED_PAD src0_sel:DWORD src1_sel:BYTE_0
	v_mul_f32_e32 v15, v33, v34
	v_fma_f32 v14, v33, v32, -v14
	v_lshlrev_b32_sdwa v43, v45, v24 dst_sel:DWORD dst_unused:UNUSED_PAD src0_sel:DWORD src1_sel:BYTE_1
	global_load_dwordx2 v[33:34], v31, s[0:1]
	global_load_dwordx2 v[35:36], v43, s[0:1] offset:2048
	global_load_dwordx2 v[57:58], v[16:17], off offset:456
	v_bfe_u32 v16, v24, 16, 8
	v_add_u32_e32 v24, 0x78, v63
	v_mul_lo_u32 v24, v13, v24
	v_lshl_or_b32 v16, v16, 3, v46
	v_fmac_f32_e32 v12, v39, v27
	global_load_dwordx2 v[59:60], v16, s[0:1]
	v_fmac_f32_e32 v15, v30, v32
	s_waitcnt vmcnt(6)
	v_mul_f32_e32 v17, v54, v56
	v_mul_f32_e32 v27, v53, v56
	v_lshlrev_b32_sdwa v30, v45, v24 dst_sel:DWORD dst_unused:UNUSED_PAD src0_sel:DWORD src1_sel:BYTE_0
	v_fma_f32 v17, v53, v55, -v17
	v_fmac_f32_e32 v27, v54, v55
	v_lshlrev_b32_sdwa v31, v45, v24 dst_sel:DWORD dst_unused:UNUSED_PAD src0_sel:DWORD src1_sel:BYTE_1
	global_load_dwordx2 v[53:54], v30, s[0:1]
	global_load_dwordx2 v[55:56], v31, s[0:1] offset:2048
	v_fma_f32 v43, v38, 2.0, -v29
	v_mul_f32_e32 v29, v27, v50
	v_fma_f32 v64, v49, v17, -v29
	v_mul_f32_e32 v29, v17, v50
	v_fmac_f32_e32 v29, v49, v27
	v_fma_f32 v16, v37, 2.0, -v39
	v_mul_f32_e32 v17, v43, v29
	v_fmac_f32_e32 v17, v16, v64
	v_mul_f32_e32 v16, v16, v29
	v_fma_f32 v16, v43, v64, -v16
	s_waitcnt vmcnt(7)
	v_mul_f32_e32 v29, v6, v7
	v_mul_f32_e32 v6, v6, v8
	v_fma_f32 v32, v5, v7, -v6
	v_bfe_u32 v7, v24, 16, 8
	v_lshl_or_b32 v7, v7, 3, v46
	v_fmac_f32_e32 v29, v5, v8
	global_load_dwordx2 v[7:8], v7, s[0:1]
	s_waitcnt vmcnt(7)
	v_mul_f32_e32 v27, v23, v1
	s_waitcnt vmcnt(5)
	v_mul_f32_e32 v24, v34, v36
	v_fma_f32 v24, v33, v35, -v24
	v_mul_f32_e32 v33, v33, v36
	v_fmac_f32_e32 v33, v34, v35
	v_add_u32_e32 v34, 60, v63
	v_mul_lo_u32 v34, v13, v34
	v_fmac_f32_e32 v27, v22, v2
	v_mul_f32_e32 v2, v23, v2
	v_fma_f32 v1, v22, v1, -v2
	v_lshlrev_b32_sdwa v2, v45, v34 dst_sel:DWORD dst_unused:UNUSED_PAD src0_sel:DWORD src1_sel:BYTE_0
	global_load_dwordx2 v[22:23], v2, s[0:1]
	v_lshlrev_b32_sdwa v2, v45, v34 dst_sel:DWORD dst_unused:UNUSED_PAD src0_sel:DWORD src1_sel:BYTE_1
	global_load_dwordx2 v[48:49], v2, s[0:1] offset:2048
	v_add_u32_e32 v2, 0x4380, v47
	ds_read2_b64 v[36:39], v2 offset1:240
	v_bfe_u32 v2, v34, 16, 8
	s_waitcnt lgkmcnt(1)
	v_mul_f32_e32 v5, v4, v52
	v_mul_f32_e32 v31, v4, v51
	v_lshl_or_b32 v2, v2, 3, v46
	v_fma_f32 v30, v3, v51, -v5
	v_fmac_f32_e32 v31, v3, v52
	ds_read2st64_b64 v[3:6], v47 offset1:15
	global_load_dwordx2 v[50:51], v2, s[0:1]
	global_load_dwordx2 v[61:62], v[25:26], off offset:456
	v_mul_lo_u32 v26, v13, v63
	s_waitcnt vmcnt(8) lgkmcnt(1)
	v_mul_f32_e32 v2, v39, v58
	v_fma_f32 v2, v38, v57, -v2
	s_waitcnt lgkmcnt(0)
	v_mul_f32_e32 v35, v21, v6
	v_fma_f32 v35, v20, v5, -v35
	v_mul_f32_e32 v5, v21, v5
	s_waitcnt vmcnt(7)
	v_mul_f32_e32 v25, v33, v60
	v_fmac_f32_e32 v5, v20, v6
	v_sub_f32_e32 v20, v19, v27
	v_sub_f32_e32 v6, v35, v2
	v_mul_f32_e32 v2, v38, v58
	v_fma_f32 v25, v59, v24, -v25
	v_sub_f32_e32 v43, v18, v1
	v_mul_f32_e32 v1, v24, v60
	s_waitcnt vmcnt(5)
	v_mul_f32_e32 v24, v54, v56
	v_lshlrev_b32_sdwa v27, v45, v26 dst_sel:DWORD dst_unused:UNUSED_PAD src0_sel:DWORD src1_sel:BYTE_0
	v_fmac_f32_e32 v2, v39, v57
	v_fmac_f32_e32 v1, v59, v33
	v_fma_f32 v24, v53, v55, -v24
	v_mul_f32_e32 v56, v53, v56
	v_lshlrev_b32_sdwa v33, v45, v26 dst_sel:DWORD dst_unused:UNUSED_PAD src0_sel:DWORD src1_sel:BYTE_1
	global_load_dwordx2 v[38:39], v27, s[0:1]
	global_load_dwordx2 v[52:53], v33, s[0:1] offset:2048
	v_sub_f32_e32 v34, v5, v2
	v_add_f32_e32 v21, v20, v6
	v_sub_f32_e32 v47, v43, v34
	v_mul_f32_e32 v2, v47, v1
	v_mul_f32_e32 v1, v21, v1
	v_fma_f32 v1, v47, v25, -v1
	v_fmac_f32_e32 v2, v21, v25
	v_bfe_u32 v25, v26, 16, 8
	v_lshl_or_b32 v25, v25, 3, v46
	global_load_dwordx2 v[26:27], v25, s[0:1]
	v_fmac_f32_e32 v56, v54, v55
	v_fma_f32 v5, v5, 2.0, -v34
	v_fma_f32 v19, v19, 2.0, -v20
	v_sub_f32_e32 v33, v19, v5
	v_fma_f32 v18, v18, 2.0, -v43
	v_fma_f32 v43, v43, 2.0, -v47
	s_waitcnt vmcnt(7)
	v_mul_f32_e32 v5, v56, v8
	v_fma_f32 v54, v7, v24, -v5
	v_fma_f32 v5, v35, 2.0, -v6
	v_sub_f32_e32 v34, v18, v5
	v_mul_f32_e32 v5, v24, v8
	v_fmac_f32_e32 v5, v7, v56
	v_fma_f32 v7, v20, 2.0, -v21
	v_add_u32_e32 v20, 0xb4, v28
	v_mul_lo_u32 v20, v13, v20
	v_mul_f32_e32 v6, v34, v5
	v_mul_f32_e32 v5, v33, v5
	v_fma_f32 v5, v34, v54, -v5
	v_bfe_u32 v21, v20, 16, 8
	v_lshlrev_b32_sdwa v55, v45, v20 dst_sel:DWORD dst_unused:UNUSED_PAD src0_sel:DWORD src1_sel:BYTE_1
	s_waitcnt vmcnt(5)
	v_mul_f32_e32 v35, v22, v49
	v_mul_f32_e32 v8, v23, v49
	v_fmac_f32_e32 v35, v23, v48
	v_fma_f32 v8, v22, v48, -v8
	v_lshlrev_b32_sdwa v49, v45, v20 dst_sel:DWORD dst_unused:UNUSED_PAD src0_sel:DWORD src1_sel:BYTE_0
	v_lshl_or_b32 v48, v21, 3, v46
	global_load_dwordx2 v[22:23], v49, s[0:1]
	global_load_dwordx2 v[24:25], v55, s[0:1] offset:2048
	global_load_dwordx2 v[20:21], v48, s[0:1]
	v_fmac_f32_e32 v6, v33, v54
	v_fma_f32 v18, v18, 2.0, -v34
	s_waitcnt vmcnt(7)
	v_mul_f32_e32 v47, v35, v51
	v_fma_f32 v55, v50, v8, -v47
	v_mul_f32_e32 v49, v8, v51
	s_waitcnt vmcnt(6)
	v_mul_f32_e32 v8, v62, v37
	v_fmac_f32_e32 v49, v50, v35
	v_fma_f32 v35, v61, v36, -v8
	v_add_u32_e32 v8, 0x78, v28
	v_mul_lo_u32 v50, v13, v8
	v_mul_f32_e32 v57, v62, v36
	v_mul_f32_e32 v8, v43, v49
	v_fmac_f32_e32 v57, v61, v37
	v_lshlrev_b32_sdwa v51, v45, v50 dst_sel:DWORD dst_unused:UNUSED_PAD src0_sel:DWORD src1_sel:BYTE_0
	v_fmac_f32_e32 v8, v7, v55
	v_lshlrev_b32_sdwa v56, v45, v50 dst_sel:DWORD dst_unused:UNUSED_PAD src0_sel:DWORD src1_sel:BYTE_1
	global_load_dwordx2 v[36:37], v51, s[0:1]
	global_load_dwordx2 v[47:48], v56, s[0:1] offset:2048
	v_mul_f32_e32 v7, v7, v49
	v_add_u32_e32 v51, 60, v28
	v_fma_f32 v7, v43, v55, -v7
	v_mul_lo_u32 v55, v13, v51
	v_bfe_u32 v49, v50, 16, 8
	v_lshl_or_b32 v49, v49, 3, v46
	global_load_dwordx2 v[49:50], v49, s[0:1]
	v_lshlrev_b32_sdwa v51, v45, v55 dst_sel:DWORD dst_unused:UNUSED_PAD src0_sel:DWORD src1_sel:BYTE_1
	s_waitcnt vmcnt(7)
	v_mul_f32_e32 v43, v39, v53
	v_mul_f32_e32 v56, v38, v53
	v_bfe_u32 v53, v55, 16, 8
	v_fma_f32 v43, v38, v52, -v43
	v_lshlrev_b32_sdwa v38, v45, v55 dst_sel:DWORD dst_unused:UNUSED_PAD src0_sel:DWORD src1_sel:BYTE_0
	v_lshl_or_b32 v53, v53, 3, v46
	v_fmac_f32_e32 v56, v39, v52
	global_load_dwordx2 v[51:52], v51, s[0:1] offset:2048
	v_mul_lo_u32 v13, v13, v28
	global_load_dwordx2 v[53:54], v53, s[0:1]
	s_waitcnt vmcnt(8)
	v_mul_f32_e32 v55, v56, v27
	global_load_dwordx2 v[38:39], v38, s[0:1]
	v_fma_f32 v58, v26, v43, -v55
	v_mul_f32_e32 v43, v43, v27
	v_lshlrev_b32_sdwa v59, v45, v13 dst_sel:DWORD dst_unused:UNUSED_PAD src0_sel:DWORD src1_sel:BYTE_0
	v_fmac_f32_e32 v43, v26, v56
	v_lshlrev_b32_sdwa v45, v45, v13 dst_sel:DWORD dst_unused:UNUSED_PAD src0_sel:DWORD src1_sel:BYTE_1
	global_load_dwordx2 v[26:27], v59, s[0:1]
	global_load_dwordx2 v[55:56], v45, s[0:1] offset:2048
	v_bfe_u32 v13, v13, 16, 8
	v_lshl_or_b32 v13, v13, 3, v46
	global_load_dwordx2 v[45:46], v13, s[0:1]
	v_fma_f32 v13, v19, 2.0, -v33
	v_mul_f32_e32 v19, v18, v43
	v_fmac_f32_e32 v19, v13, v58
	v_mul_f32_e32 v13, v13, v43
	v_fma_f32 v18, v18, v58, -v13
	v_sub_f32_e32 v13, v4, v29
	v_sub_f32_e32 v29, v30, v35
	v_add_f32_e32 v33, v13, v29
	s_movk_i32 s1, 0x2cf
	v_cmp_lt_u32_e32 vcc, s1, v0
	s_add_u32 s1, s12, s2
	s_addc_u32 s2, s13, s3
	s_movk_i32 s0, 0xb4
	s_waitcnt vmcnt(10)
	v_mul_f32_e32 v34, v23, v25
	v_fma_f32 v34, v22, v24, -v34
	v_mul_f32_e32 v22, v22, v25
	v_fmac_f32_e32 v22, v23, v24
	s_waitcnt vmcnt(9)
	v_mul_f32_e32 v23, v22, v21
	v_fma_f32 v23, v20, v34, -v23
	v_sub_f32_e32 v24, v3, v32
	v_sub_f32_e32 v25, v31, v57
	v_mul_f32_e32 v34, v34, v21
	v_sub_f32_e32 v32, v24, v25
	v_fmac_f32_e32 v34, v20, v22
	v_mul_f32_e32 v21, v32, v34
	v_mul_f32_e32 v20, v33, v34
	v_fma_f32 v34, v4, 2.0, -v13
	v_fma_f32 v4, v31, 2.0, -v25
	v_sub_f32_e32 v25, v34, v4
	v_fma_f32 v31, v3, 2.0, -v24
	v_fma_f32 v3, v30, 2.0, -v29
	s_waitcnt vmcnt(7)
	v_mul_f32_e32 v4, v37, v48
	v_fma_f32 v4, v36, v47, -v4
	v_mul_f32_e32 v22, v36, v48
	v_fmac_f32_e32 v22, v37, v47
	v_sub_f32_e32 v29, v31, v3
	v_fmac_f32_e32 v21, v33, v23
	v_fma_f32 v20, v32, v23, -v20
	s_waitcnt vmcnt(6)
	v_mul_f32_e32 v3, v4, v50
	v_mul_f32_e32 v23, v22, v50
	v_fmac_f32_e32 v3, v49, v22
	v_fma_f32 v23, v49, v4, -v23
	v_mul_f32_e32 v4, v29, v3
	v_mul_f32_e32 v3, v25, v3
	v_fmac_f32_e32 v4, v25, v23
	v_fma_f32 v3, v29, v23, -v3
	v_fma_f32 v24, v24, 2.0, -v32
	v_fma_f32 v13, v13, 2.0, -v33
	s_waitcnt vmcnt(3)
	v_mul_f32_e32 v23, v38, v52
	v_mul_f32_e32 v22, v39, v52
	v_fmac_f32_e32 v23, v39, v51
	v_fma_f32 v22, v38, v51, -v22
	v_mul_f32_e32 v30, v23, v54
	v_fma_f32 v30, v53, v22, -v30
	v_mul_f32_e32 v22, v22, v54
	v_fmac_f32_e32 v22, v53, v23
	v_mul_f32_e32 v23, v24, v22
	v_fmac_f32_e32 v23, v13, v30
	v_mul_f32_e32 v13, v13, v22
	v_fma_f32 v22, v24, v30, -v13
	v_fma_f32 v24, v34, 2.0, -v25
	s_waitcnt vmcnt(1)
	v_mul_f32_e32 v25, v26, v56
	v_mul_f32_e32 v13, v27, v56
	v_fmac_f32_e32 v25, v27, v55
	v_fma_f32 v13, v26, v55, -v13
	s_waitcnt vmcnt(0)
	v_mul_f32_e32 v26, v25, v46
	v_fma_f32 v33, v45, v13, -v26
	v_mul_f32_e32 v35, v13, v46
	v_mov_b32_e32 v13, 0xf0
	v_cndmask_b32_e32 v13, 0, v13, vcc
	v_mad_u64_u32 v[26:27], s[4:5], s10, v40, 0
	v_add_u32_e32 v36, v28, v13
	v_fma_f32 v34, v31, 2.0, -v29
	v_mad_u64_u32 v[28:29], s[4:5], s8, v36, 0
	v_mov_b32_e32 v13, v27
	v_mad_u64_u32 v[30:31], s[4:5], s11, v40, v[13:14]
	v_mov_b32_e32 v13, v29
	v_mad_u64_u32 v[31:32], s[4:5], s9, v36, v[13:14]
	v_fmac_f32_e32 v35, v45, v25
	v_mul_f32_e32 v25, v34, v35
	v_mul_f32_e32 v13, v24, v35
	v_add_u32_e32 v32, 60, v36
	v_fmac_f32_e32 v25, v24, v33
	v_fma_f32 v24, v34, v33, -v13
	v_mov_b32_e32 v27, v30
	v_mov_b32_e32 v29, v31
	;; [unrolled: 1-line block ×3, first 2 shown]
	v_mad_u64_u32 v[30:31], s[2:3], s8, v32, 0
	v_lshlrev_b64 v[26:27], 3, v[26:27]
	v_add_co_u32_e32 v33, vcc, s1, v26
	v_addc_co_u32_e32 v34, vcc, v13, v27, vcc
	v_mov_b32_e32 v13, v31
	v_lshlrev_b64 v[26:27], 3, v[28:29]
	v_mad_u64_u32 v[28:29], s[2:3], s9, v32, v[13:14]
	v_add_co_u32_e32 v26, vcc, v33, v26
	v_addc_co_u32_e32 v27, vcc, v34, v27, vcc
	v_mov_b32_e32 v31, v28
	v_add_u32_e32 v28, 0x78, v36
	global_store_dwordx2 v[26:27], v[24:25], off
	v_mad_u64_u32 v[26:27], s[2:3], s8, v28, 0
	v_lshlrev_b64 v[24:25], 3, v[30:31]
	v_add_u32_e32 v30, 0xb4, v36
	v_mov_b32_e32 v13, v27
	v_mad_u64_u32 v[27:28], s[2:3], s9, v28, v[13:14]
	v_add_co_u32_e32 v24, vcc, v33, v24
	v_addc_co_u32_e32 v25, vcc, v34, v25, vcc
	v_mad_u64_u32 v[28:29], s[2:3], s8, v30, 0
	global_store_dwordx2 v[24:25], v[22:23], off
	v_lshlrev_b64 v[22:23], 3, v[26:27]
	v_mov_b32_e32 v13, v29
	v_add_co_u32_e32 v22, vcc, v33, v22
	v_addc_co_u32_e32 v23, vcc, v34, v23, vcc
	s_movk_i32 s1, 0x1df
	v_mad_u64_u32 v[24:25], s[2:3], s9, v30, v[13:14]
	v_mov_b32_e32 v13, 0xb4
	v_cmp_lt_u32_e32 vcc, s1, v0
	v_cndmask_b32_e32 v0, 0, v13, vcc
	v_add_u32_e32 v13, v41, v0
	global_store_dwordx2 v[22:23], v[3:4], off
	v_mad_u64_u32 v[22:23], s[2:3], s8, v13, 0
	v_mov_b32_e32 v29, v24
	v_add_u32_e32 v26, 60, v13
	v_mov_b32_e32 v0, v23
	v_mad_u64_u32 v[23:24], s[2:3], s9, v13, v[0:1]
	v_mad_u64_u32 v[24:25], s[2:3], s8, v26, 0
	v_lshlrev_b64 v[3:4], 3, v[28:29]
	v_add_co_u32_e32 v3, vcc, v33, v3
	v_addc_co_u32_e32 v4, vcc, v34, v4, vcc
	v_mov_b32_e32 v0, v25
	global_store_dwordx2 v[3:4], v[20:21], off
	v_mad_u64_u32 v[20:21], s[2:3], s9, v26, v[0:1]
	v_lshlrev_b64 v[3:4], 3, v[22:23]
	v_add_co_u32_e32 v3, vcc, v33, v3
	v_addc_co_u32_e32 v4, vcc, v34, v4, vcc
	v_mov_b32_e32 v25, v20
	v_add_u32_e32 v20, 0x78, v13
	global_store_dwordx2 v[3:4], v[18:19], off
	v_mad_u64_u32 v[18:19], s[2:3], s8, v20, 0
	v_lshlrev_b64 v[3:4], 3, v[24:25]
	v_add_u32_e32 v13, 0xb4, v13
	v_mov_b32_e32 v0, v19
	v_mad_u64_u32 v[19:20], s[2:3], s9, v20, v[0:1]
	v_add_co_u32_e32 v3, vcc, v33, v3
	v_mad_u64_u32 v[20:21], s[2:3], s8, v13, 0
	v_addc_co_u32_e32 v4, vcc, v34, v4, vcc
	global_store_dwordx2 v[3:4], v[7:8], off
	v_lshlrev_b64 v[3:4], 3, v[18:19]
	v_mov_b32_e32 v0, v21
	v_add_co_u32_e32 v3, vcc, v33, v3
	v_mad_u64_u32 v[7:8], s[2:3], s9, v13, v[0:1]
	v_addc_co_u32_e32 v4, vcc, v34, v4, vcc
	v_mad_u32_u24 v13, v44, s0, v42
	global_store_dwordx2 v[3:4], v[5:6], off
	v_mad_u64_u32 v[5:6], s[0:1], s8, v13, 0
	v_mov_b32_e32 v21, v7
	v_add_u32_e32 v18, 60, v13
	v_mov_b32_e32 v0, v6
	v_mad_u64_u32 v[6:7], s[0:1], s9, v13, v[0:1]
	v_lshlrev_b64 v[3:4], 3, v[20:21]
	v_mad_u64_u32 v[7:8], s[0:1], s8, v18, 0
	v_add_co_u32_e32 v3, vcc, v33, v3
	v_addc_co_u32_e32 v4, vcc, v34, v4, vcc
	global_store_dwordx2 v[3:4], v[1:2], off
	v_mov_b32_e32 v2, v8
	v_mad_u64_u32 v[2:3], s[0:1], s9, v18, v[2:3]
	v_add_u32_e32 v4, 0x78, v13
	v_lshlrev_b64 v[0:1], 3, v[5:6]
	v_mov_b32_e32 v8, v2
	v_mad_u64_u32 v[2:3], s[0:1], s8, v4, 0
	v_add_co_u32_e32 v0, vcc, v33, v0
	v_addc_co_u32_e32 v1, vcc, v34, v1, vcc
	v_mad_u64_u32 v[3:4], s[0:1], s9, v4, v[3:4]
	v_add_u32_e32 v6, 0xb4, v13
	global_store_dwordx2 v[0:1], v[16:17], off
	v_lshlrev_b64 v[0:1], 3, v[7:8]
	v_mad_u64_u32 v[4:5], s[0:1], s8, v6, 0
	v_add_co_u32_e32 v0, vcc, v33, v0
	v_addc_co_u32_e32 v1, vcc, v34, v1, vcc
	global_store_dwordx2 v[0:1], v[14:15], off
	v_lshlrev_b64 v[0:1], 3, v[2:3]
	v_mov_b32_e32 v2, v5
	v_mad_u64_u32 v[2:3], s[0:1], s9, v6, v[2:3]
	v_add_co_u32_e32 v0, vcc, v33, v0
	v_addc_co_u32_e32 v1, vcc, v34, v1, vcc
	v_mov_b32_e32 v5, v2
	global_store_dwordx2 v[0:1], v[11:12], off
	v_lshlrev_b64 v[0:1], 3, v[4:5]
	v_add_co_u32_e32 v0, vcc, v33, v0
	v_addc_co_u32_e32 v1, vcc, v34, v1, vcc
	global_store_dwordx2 v[0:1], v[9:10], off
.LBB0_22:
	s_endpgm
	.section	.rodata,"a",@progbits
	.p2align	6, 0x0
	.amdhsa_kernel fft_rtc_fwd_len240_factors_5_3_4_4_wgs_240_tpt_20_dim3_sp_ip_CI_sbcc_twdbase8_3step_dirReg
		.amdhsa_group_segment_fixed_size 0
		.amdhsa_private_segment_fixed_size 0
		.amdhsa_kernarg_size 88
		.amdhsa_user_sgpr_count 6
		.amdhsa_user_sgpr_private_segment_buffer 1
		.amdhsa_user_sgpr_dispatch_ptr 0
		.amdhsa_user_sgpr_queue_ptr 0
		.amdhsa_user_sgpr_kernarg_segment_ptr 1
		.amdhsa_user_sgpr_dispatch_id 0
		.amdhsa_user_sgpr_flat_scratch_init 0
		.amdhsa_user_sgpr_private_segment_size 0
		.amdhsa_uses_dynamic_stack 0
		.amdhsa_system_sgpr_private_segment_wavefront_offset 0
		.amdhsa_system_sgpr_workgroup_id_x 1
		.amdhsa_system_sgpr_workgroup_id_y 0
		.amdhsa_system_sgpr_workgroup_id_z 0
		.amdhsa_system_sgpr_workgroup_info 0
		.amdhsa_system_vgpr_workitem_id 0
		.amdhsa_next_free_vgpr 65
		.amdhsa_next_free_sgpr 26
		.amdhsa_reserve_vcc 1
		.amdhsa_reserve_flat_scratch 0
		.amdhsa_float_round_mode_32 0
		.amdhsa_float_round_mode_16_64 0
		.amdhsa_float_denorm_mode_32 3
		.amdhsa_float_denorm_mode_16_64 3
		.amdhsa_dx10_clamp 1
		.amdhsa_ieee_mode 1
		.amdhsa_fp16_overflow 0
		.amdhsa_exception_fp_ieee_invalid_op 0
		.amdhsa_exception_fp_denorm_src 0
		.amdhsa_exception_fp_ieee_div_zero 0
		.amdhsa_exception_fp_ieee_overflow 0
		.amdhsa_exception_fp_ieee_underflow 0
		.amdhsa_exception_fp_ieee_inexact 0
		.amdhsa_exception_int_div_zero 0
	.end_amdhsa_kernel
	.text
.Lfunc_end0:
	.size	fft_rtc_fwd_len240_factors_5_3_4_4_wgs_240_tpt_20_dim3_sp_ip_CI_sbcc_twdbase8_3step_dirReg, .Lfunc_end0-fft_rtc_fwd_len240_factors_5_3_4_4_wgs_240_tpt_20_dim3_sp_ip_CI_sbcc_twdbase8_3step_dirReg
                                        ; -- End function
	.section	.AMDGPU.csdata,"",@progbits
; Kernel info:
; codeLenInByte = 8996
; NumSgprs: 30
; NumVgprs: 65
; ScratchSize: 0
; MemoryBound: 0
; FloatMode: 240
; IeeeMode: 1
; LDSByteSize: 0 bytes/workgroup (compile time only)
; SGPRBlocks: 3
; VGPRBlocks: 16
; NumSGPRsForWavesPerEU: 30
; NumVGPRsForWavesPerEU: 65
; Occupancy: 3
; WaveLimiterHint : 1
; COMPUTE_PGM_RSRC2:SCRATCH_EN: 0
; COMPUTE_PGM_RSRC2:USER_SGPR: 6
; COMPUTE_PGM_RSRC2:TRAP_HANDLER: 0
; COMPUTE_PGM_RSRC2:TGID_X_EN: 1
; COMPUTE_PGM_RSRC2:TGID_Y_EN: 0
; COMPUTE_PGM_RSRC2:TGID_Z_EN: 0
; COMPUTE_PGM_RSRC2:TIDIG_COMP_CNT: 0
	.type	__hip_cuid_3e9f62c730801ab9,@object ; @__hip_cuid_3e9f62c730801ab9
	.section	.bss,"aw",@nobits
	.globl	__hip_cuid_3e9f62c730801ab9
__hip_cuid_3e9f62c730801ab9:
	.byte	0                               ; 0x0
	.size	__hip_cuid_3e9f62c730801ab9, 1

	.ident	"AMD clang version 19.0.0git (https://github.com/RadeonOpenCompute/llvm-project roc-6.4.0 25133 c7fe45cf4b819c5991fe208aaa96edf142730f1d)"
	.section	".note.GNU-stack","",@progbits
	.addrsig
	.addrsig_sym __hip_cuid_3e9f62c730801ab9
	.amdgpu_metadata
---
amdhsa.kernels:
  - .args:
      - .actual_access:  read_only
        .address_space:  global
        .offset:         0
        .size:           8
        .value_kind:     global_buffer
      - .address_space:  global
        .offset:         8
        .size:           8
        .value_kind:     global_buffer
      - .actual_access:  read_only
        .address_space:  global
        .offset:         16
        .size:           8
        .value_kind:     global_buffer
      - .actual_access:  read_only
        .address_space:  global
        .offset:         24
        .size:           8
        .value_kind:     global_buffer
      - .offset:         32
        .size:           8
        .value_kind:     by_value
      - .actual_access:  read_only
        .address_space:  global
        .offset:         40
        .size:           8
        .value_kind:     global_buffer
      - .actual_access:  read_only
        .address_space:  global
        .offset:         48
        .size:           8
        .value_kind:     global_buffer
      - .offset:         56
        .size:           4
        .value_kind:     by_value
      - .actual_access:  read_only
        .address_space:  global
        .offset:         64
        .size:           8
        .value_kind:     global_buffer
      - .actual_access:  read_only
        .address_space:  global
        .offset:         72
        .size:           8
        .value_kind:     global_buffer
      - .address_space:  global
        .offset:         80
        .size:           8
        .value_kind:     global_buffer
    .group_segment_fixed_size: 0
    .kernarg_segment_align: 8
    .kernarg_segment_size: 88
    .language:       OpenCL C
    .language_version:
      - 2
      - 0
    .max_flat_workgroup_size: 240
    .name:           fft_rtc_fwd_len240_factors_5_3_4_4_wgs_240_tpt_20_dim3_sp_ip_CI_sbcc_twdbase8_3step_dirReg
    .private_segment_fixed_size: 0
    .sgpr_count:     30
    .sgpr_spill_count: 0
    .symbol:         fft_rtc_fwd_len240_factors_5_3_4_4_wgs_240_tpt_20_dim3_sp_ip_CI_sbcc_twdbase8_3step_dirReg.kd
    .uniform_work_group_size: 1
    .uses_dynamic_stack: false
    .vgpr_count:     65
    .vgpr_spill_count: 0
    .wavefront_size: 64
amdhsa.target:   amdgcn-amd-amdhsa--gfx906
amdhsa.version:
  - 1
  - 2
...

	.end_amdgpu_metadata
